;; amdgpu-corpus repo=ROCm/rocFFT kind=compiled arch=gfx906 opt=O3
	.text
	.amdgcn_target "amdgcn-amd-amdhsa--gfx906"
	.amdhsa_code_object_version 6
	.protected	bluestein_single_fwd_len60_dim1_dp_op_CI_CI ; -- Begin function bluestein_single_fwd_len60_dim1_dp_op_CI_CI
	.globl	bluestein_single_fwd_len60_dim1_dp_op_CI_CI
	.p2align	8
	.type	bluestein_single_fwd_len60_dim1_dp_op_CI_CI,@function
bluestein_single_fwd_len60_dim1_dp_op_CI_CI: ; @bluestein_single_fwd_len60_dim1_dp_op_CI_CI
; %bb.0:
	v_mul_u32_u24_e32 v1, 0x199a, v0
	s_load_dwordx4 s[12:15], s[4:5], 0x28
	v_lshrrev_b32_e32 v1, 16, v1
	v_mad_u64_u32 v[100:101], s[0:1], s6, 6, v[1:2]
	v_mov_b32_e32 v101, 0
	s_waitcnt lgkmcnt(0)
	v_cmp_gt_u64_e32 vcc, s[12:13], v[100:101]
	s_and_saveexec_b64 s[0:1], vcc
	s_cbranch_execz .LBB0_10
; %bb.1:
	s_load_dwordx4 s[0:3], s[4:5], 0x18
	s_load_dwordx4 s[8:11], s[4:5], 0x0
	v_mul_lo_u16_e32 v1, 10, v1
	v_sub_u16_e32 v151, v0, v1
	v_lshlrev_b32_e32 v153, 4, v151
	s_waitcnt lgkmcnt(0)
	s_load_dwordx4 s[16:19], s[0:1], 0x0
	s_load_dwordx2 s[12:13], s[4:5], 0x38
                                        ; implicit-def: $vgpr84_vgpr85
                                        ; implicit-def: $vgpr88_vgpr89
                                        ; implicit-def: $vgpr92_vgpr93
                                        ; implicit-def: $vgpr96_vgpr97
	s_waitcnt lgkmcnt(0)
	v_mad_u64_u32 v[0:1], s[0:1], s18, v100, 0
	v_mad_u64_u32 v[2:3], s[0:1], s16, v151, 0
	;; [unrolled: 1-line block ×4, first 2 shown]
	v_mov_b32_e32 v1, v4
	v_lshlrev_b64 v[0:1], 4, v[0:1]
	v_mov_b32_e32 v6, s15
	v_mov_b32_e32 v3, v5
	v_add_co_u32_e32 v4, vcc, s14, v0
	v_addc_co_u32_e32 v5, vcc, v6, v1, vcc
	v_lshlrev_b64 v[0:1], 4, v[2:3]
	s_mul_i32 s0, s17, 0xa0
	v_add_co_u32_e32 v0, vcc, v4, v0
	s_mul_hi_u32 s1, s16, 0xa0
	v_addc_co_u32_e32 v1, vcc, v5, v1, vcc
	s_add_i32 s0, s1, s0
	s_mul_i32 s1, s16, 0xa0
	global_load_dwordx4 v[24:27], v[0:1], off
	v_mov_b32_e32 v2, s0
	v_add_co_u32_e32 v0, vcc, s1, v0
	v_addc_co_u32_e32 v1, vcc, v1, v2, vcc
	v_mov_b32_e32 v3, s0
	v_add_co_u32_e32 v2, vcc, s1, v0
	v_addc_co_u32_e32 v3, vcc, v1, v3, vcc
	global_load_dwordx4 v[20:23], v153, s[8:9]
	global_load_dwordx4 v[16:19], v153, s[8:9] offset:160
	global_load_dwordx4 v[28:31], v[0:1], off
	global_load_dwordx4 v[32:35], v[2:3], off
	v_mov_b32_e32 v0, s0
	v_add_co_u32_e32 v8, vcc, s1, v2
	v_addc_co_u32_e32 v9, vcc, v3, v0, vcc
	v_mov_b32_e32 v11, s0
	v_add_co_u32_e32 v10, vcc, s1, v8
	global_load_dwordx4 v[4:7], v153, s[8:9] offset:320
	global_load_dwordx4 v[0:3], v153, s[8:9] offset:480
	v_addc_co_u32_e32 v11, vcc, v9, v11, vcc
	global_load_dwordx4 v[36:39], v[8:9], off
	global_load_dwordx4 v[40:43], v[10:11], off
	v_mov_b32_e32 v8, s0
	v_add_co_u32_e32 v48, vcc, s1, v10
	v_addc_co_u32_e32 v49, vcc, v11, v8, vcc
	global_load_dwordx4 v[8:11], v153, s[8:9] offset:640
	global_load_dwordx4 v[12:15], v153, s[8:9] offset:800
	global_load_dwordx4 v[44:47], v[48:49], off
	s_mov_b32 s0, 0xaaaaaaab
	v_mul_hi_u32 v48, v100, s0
	s_load_dwordx4 s[4:7], s[2:3], 0x0
	s_mov_b32 s0, 0xe8584caa
	s_mov_b32 s1, 0x3febb67a
	v_lshrrev_b32_e32 v48, 2, v48
	v_mul_lo_u32 v48, v48, 6
	s_mov_b32 s15, 0xbfebb67a
	s_mov_b32 s14, s0
	v_add_co_u32_e32 v101, vcc, s8, v153
	v_sub_u32_e32 v48, v100, v48
	v_mul_u32_u24_e32 v72, 60, v48
	v_lshlrev_b32_e32 v155, 4, v72
	v_add_u32_e32 v152, v153, v155
	s_waitcnt vmcnt(10)
	v_mul_f64 v[48:49], v[26:27], v[22:23]
	v_mul_f64 v[50:51], v[24:25], v[22:23]
	s_waitcnt vmcnt(8)
	v_mul_f64 v[52:53], v[30:31], v[18:19]
	v_mul_f64 v[54:55], v[28:29], v[18:19]
	v_fma_f64 v[24:25], v[24:25], v[20:21], v[48:49]
	v_fma_f64 v[26:27], v[26:27], v[20:21], -v[50:51]
	s_waitcnt vmcnt(6)
	v_mul_f64 v[56:57], v[34:35], v[6:7]
	v_mul_f64 v[58:59], v[32:33], v[6:7]
	v_fma_f64 v[28:29], v[28:29], v[16:17], v[52:53]
	s_waitcnt vmcnt(4)
	v_mul_f64 v[60:61], v[38:39], v[2:3]
	v_mul_f64 v[62:63], v[36:37], v[2:3]
	v_fma_f64 v[30:31], v[30:31], v[16:17], -v[54:55]
	s_waitcnt vmcnt(2)
	v_mul_f64 v[64:65], v[42:43], v[10:11]
	v_mul_f64 v[66:67], v[40:41], v[10:11]
	s_waitcnt vmcnt(0)
	v_mul_f64 v[68:69], v[46:47], v[14:15]
	v_mul_f64 v[70:71], v[44:45], v[14:15]
	v_fma_f64 v[32:33], v[32:33], v[4:5], v[56:57]
	v_fma_f64 v[34:35], v[34:35], v[4:5], -v[58:59]
	v_fma_f64 v[36:37], v[36:37], v[0:1], v[60:61]
	v_fma_f64 v[38:39], v[38:39], v[0:1], -v[62:63]
	;; [unrolled: 2-line block ×4, first 2 shown]
	ds_write_b128 v152, v[24:27]
	ds_write_b128 v152, v[28:31] offset:160
	ds_write_b128 v152, v[32:35] offset:320
	;; [unrolled: 1-line block ×5, first 2 shown]
	s_waitcnt lgkmcnt(0)
	; wave barrier
	s_waitcnt lgkmcnt(0)
	ds_read_b128 v[24:27], v152 offset:320
	ds_read_b128 v[28:31], v152 offset:480
	;; [unrolled: 1-line block ×4, first 2 shown]
	ds_read_b128 v[40:43], v152
	ds_read_b128 v[44:47], v152 offset:160
	v_mov_b32_e32 v64, s9
	s_waitcnt lgkmcnt(3)
	v_add_f64 v[54:55], v[24:25], v[32:33]
	s_waitcnt lgkmcnt(2)
	v_add_f64 v[48:49], v[30:31], v[38:39]
	v_add_f64 v[50:51], v[28:29], v[36:37]
	v_add_f64 v[60:61], v[30:31], -v[38:39]
	v_add_f64 v[62:63], v[28:29], -v[36:37]
	s_waitcnt lgkmcnt(1)
	v_add_f64 v[52:53], v[40:41], v[24:25]
	v_add_f64 v[56:57], v[26:27], -v[34:35]
	v_add_f64 v[58:59], v[42:43], v[26:27]
	v_add_f64 v[26:27], v[26:27], v[34:35]
	s_waitcnt lgkmcnt(0)
	v_fma_f64 v[48:49], v[48:49], -0.5, v[46:47]
	v_fma_f64 v[50:51], v[50:51], -0.5, v[44:45]
	v_add_f64 v[28:29], v[44:45], v[28:29]
	v_add_f64 v[30:31], v[46:47], v[30:31]
	v_add_f64 v[24:25], v[24:25], -v[32:33]
	v_add_f64 v[32:33], v[52:53], v[32:33]
	v_fma_f64 v[40:41], v[54:55], -0.5, v[40:41]
	v_fma_f64 v[26:27], v[26:27], -0.5, v[42:43]
	v_fma_f64 v[44:45], v[62:63], s[14:15], v[48:49]
	v_fma_f64 v[46:47], v[60:61], s[14:15], v[50:51]
	;; [unrolled: 1-line block ×4, first 2 shown]
	v_add_f64 v[28:29], v[28:29], v[36:37]
	v_add_f64 v[30:31], v[30:31], v[38:39]
	;; [unrolled: 1-line block ×3, first 2 shown]
	v_fma_f64 v[54:55], v[56:57], s[0:1], v[40:41]
	v_mul_f64 v[36:37], v[44:45], s[0:1]
	v_mul_f64 v[38:39], v[46:47], -0.5
	v_mul_f64 v[42:43], v[50:51], s[14:15]
	v_mul_f64 v[52:53], v[48:49], -0.5
	v_fma_f64 v[40:41], v[56:57], s[14:15], v[40:41]
	v_fma_f64 v[56:57], v[24:25], s[14:15], v[26:27]
	;; [unrolled: 1-line block ×3, first 2 shown]
	v_addc_co_u32_e32 v102, vcc, 0, v64, vcc
	v_fma_f64 v[26:27], v[50:51], 0.5, v[36:37]
	v_fma_f64 v[36:37], v[48:49], s[0:1], v[38:39]
	v_fma_f64 v[38:39], v[44:45], 0.5, v[42:43]
	v_fma_f64 v[42:43], v[46:47], s[14:15], v[52:53]
	v_add_f64 v[60:61], v[32:33], v[28:29]
	v_add_f64 v[62:63], v[34:35], v[30:31]
	v_add_f64 v[72:73], v[32:33], -v[28:29]
	v_add_f64 v[74:75], v[34:35], -v[30:31]
	v_add_f64 v[64:65], v[54:55], v[26:27]
	v_add_f64 v[68:69], v[40:41], v[36:37]
	;; [unrolled: 1-line block ×4, first 2 shown]
	v_add_f64 v[76:77], v[54:55], -v[26:27]
	v_add_f64 v[80:81], v[40:41], -v[36:37]
	;; [unrolled: 1-line block ×4, first 2 shown]
	v_mul_lo_u16_e32 v24, 6, v151
	v_lshl_add_u32 v154, v24, 4, v155
	v_cmp_gt_u16_e32 vcc, 6, v151
	s_waitcnt lgkmcnt(0)
	; wave barrier
	ds_write_b128 v154, v[60:63]
	ds_write_b128 v154, v[64:67] offset:16
	ds_write_b128 v154, v[68:71] offset:32
	;; [unrolled: 1-line block ×5, first 2 shown]
	s_waitcnt lgkmcnt(0)
	; wave barrier
	s_waitcnt lgkmcnt(0)
	s_and_saveexec_b64 s[0:1], vcc
	s_cbranch_execz .LBB0_3
; %bb.2:
	ds_read_b128 v[60:63], v152
	ds_read_b128 v[64:67], v152 offset:96
	ds_read_b128 v[68:71], v152 offset:192
	ds_read_b128 v[72:75], v152 offset:288
	ds_read_b128 v[76:79], v152 offset:384
	ds_read_b128 v[80:83], v152 offset:480
	ds_read_b128 v[84:87], v152 offset:576
	ds_read_b128 v[88:91], v152 offset:672
	ds_read_b128 v[92:95], v152 offset:768
	ds_read_b128 v[96:99], v152 offset:864
.LBB0_3:
	s_or_b64 exec, exec, s[0:1]
	v_add_u32_e32 v24, -6, v151
	v_cndmask_b32_e32 v24, v24, v151, vcc
	v_mul_hi_i32_i24_e32 v25, 0x90, v24
	v_mul_i32_i24_e32 v24, 0x90, v24
	v_mov_b32_e32 v26, s11
	v_add_co_u32_e64 v103, s[0:1], s10, v24
	v_addc_co_u32_e64 v104, s[0:1], v26, v25, s[0:1]
	global_load_dwordx4 v[24:27], v[103:104], off
	global_load_dwordx4 v[44:47], v[103:104], off offset:16
	global_load_dwordx4 v[28:31], v[103:104], off offset:32
	;; [unrolled: 1-line block ×8, first 2 shown]
	s_mov_b32 s0, 0x134454ff
	s_mov_b32 s1, 0x3fee6f0e
	;; [unrolled: 1-line block ×12, first 2 shown]
	s_waitcnt vmcnt(8) lgkmcnt(8)
	v_mul_f64 v[105:106], v[64:65], v[26:27]
	s_waitcnt vmcnt(7) lgkmcnt(7)
	v_mul_f64 v[107:108], v[70:71], v[46:47]
	v_mul_f64 v[109:110], v[68:69], v[46:47]
	s_waitcnt vmcnt(6) lgkmcnt(6)
	v_mul_f64 v[111:112], v[74:75], v[30:31]
	;; [unrolled: 3-line block ×4, first 2 shown]
	s_waitcnt vmcnt(3) lgkmcnt(3)
	v_mul_f64 v[131:132], v[86:87], v[50:51]
	v_mul_f64 v[133:134], v[84:85], v[50:51]
	s_waitcnt vmcnt(1) lgkmcnt(1)
	v_mul_f64 v[139:140], v[94:95], v[58:59]
	v_mul_f64 v[141:142], v[92:93], v[58:59]
	;; [unrolled: 1-line block ×5, first 2 shown]
	s_waitcnt vmcnt(0) lgkmcnt(0)
	v_mul_f64 v[143:144], v[98:99], v[54:55]
	v_fma_f64 v[119:120], v[66:67], v[24:25], v[105:106]
	v_fma_f64 v[113:114], v[68:69], v[44:45], -v[107:108]
	v_fma_f64 v[123:124], v[70:71], v[44:45], v[109:110]
	v_fma_f64 v[109:110], v[72:73], v[28:29], -v[111:112]
	;; [unrolled: 2-line block ×4, first 2 shown]
	v_fma_f64 v[107:108], v[84:85], v[48:49], -v[131:132]
	v_fma_f64 v[80:81], v[92:93], v[56:57], -v[139:140]
	v_fma_f64 v[92:93], v[86:87], v[48:49], v[133:134]
	v_fma_f64 v[84:85], v[94:95], v[56:57], v[141:142]
	v_mul_f64 v[137:138], v[88:89], v[38:39]
	v_mul_f64 v[145:146], v[96:97], v[54:55]
	v_fma_f64 v[103:104], v[64:65], v[24:25], -v[103:104]
	v_fma_f64 v[117:118], v[82:83], v[40:41], v[129:130]
	v_fma_f64 v[88:89], v[88:89], v[36:37], -v[135:136]
	v_fma_f64 v[82:83], v[96:97], v[52:53], -v[143:144]
	v_add_f64 v[64:65], v[113:114], -v[105:106]
	v_add_f64 v[66:67], v[80:81], -v[107:108]
	;; [unrolled: 1-line block ×8, first 2 shown]
	v_add_f64 v[127:128], v[105:106], v[107:108]
	v_add_f64 v[129:130], v[113:114], v[80:81]
	;; [unrolled: 1-line block ×3, first 2 shown]
	v_fma_f64 v[90:91], v[90:91], v[36:37], v[137:138]
	v_fma_f64 v[86:87], v[98:99], v[52:53], v[145:146]
	v_add_f64 v[94:95], v[109:110], -v[111:112]
	v_add_f64 v[96:97], v[82:83], -v[88:89]
	;; [unrolled: 1-line block ×6, first 2 shown]
	v_add_f64 v[137:138], v[123:124], v[84:85]
	v_add_f64 v[139:140], v[113:114], -v[80:81]
	v_add_f64 v[143:144], v[111:112], v[88:89]
	v_add_f64 v[145:146], v[109:110], v[82:83]
	;; [unrolled: 1-line block ×3, first 2 shown]
	v_fma_f64 v[66:67], v[127:128], -0.5, v[60:61]
	v_add_f64 v[68:69], v[68:69], v[70:71]
	v_add_f64 v[70:71], v[72:73], v[74:75]
	;; [unrolled: 1-line block ×3, first 2 shown]
	v_fma_f64 v[74:75], v[129:130], -0.5, v[60:61]
	v_fma_f64 v[78:79], v[135:136], -0.5, v[62:63]
	v_add_f64 v[141:142], v[105:106], -v[107:108]
	v_add_f64 v[147:148], v[121:122], -v[86:87]
	;; [unrolled: 1-line block ×3, first 2 shown]
	v_add_f64 v[156:157], v[117:118], v[90:91]
	v_add_f64 v[162:163], v[121:122], v[86:87]
	v_add_f64 v[76:77], v[94:95], v[96:97]
	v_add_f64 v[135:136], v[98:99], v[125:126]
	v_fma_f64 v[94:95], v[137:138], -0.5, v[62:63]
	v_fma_f64 v[96:97], v[143:144], -0.5, v[103:104]
	;; [unrolled: 1-line block ×3, first 2 shown]
	v_fma_f64 v[125:126], v[131:132], s[0:1], v[66:67]
	v_fma_f64 v[66:67], v[131:132], s[2:3], v[66:67]
	;; [unrolled: 1-line block ×6, first 2 shown]
	v_add_f64 v[160:161], v[109:110], -v[82:83]
	v_add_f64 v[164:165], v[111:112], -v[88:89]
	v_fma_f64 v[137:138], v[156:157], -0.5, v[119:120]
	v_fma_f64 v[143:144], v[162:163], -0.5, v[119:120]
	v_fma_f64 v[145:146], v[141:142], s[0:1], v[94:95]
	v_fma_f64 v[94:95], v[141:142], s[2:3], v[94:95]
	;; [unrolled: 1-line block ×12, first 2 shown]
	v_add_f64 v[158:159], v[121:122], -v[117:118]
	v_fma_f64 v[133:134], v[139:140], s[14:15], v[145:146]
	v_fma_f64 v[139:140], v[139:140], s[10:11], v[94:95]
	;; [unrolled: 1-line block ×8, first 2 shown]
	v_add_f64 v[64:65], v[86:87], -v[90:91]
	v_fma_f64 v[127:128], v[70:71], s[16:17], v[129:130]
	v_fma_f64 v[66:67], v[160:161], s[2:3], v[137:138]
	v_add_f64 v[68:69], v[117:118], -v[121:122]
	v_add_f64 v[74:75], v[90:91], -v[86:87]
	v_fma_f64 v[149:150], v[164:165], s[0:1], v[143:144]
	v_fma_f64 v[131:132], v[70:71], s[16:17], v[78:79]
	;; [unrolled: 1-line block ×5, first 2 shown]
	v_add_f64 v[64:65], v[158:159], v[64:65]
	v_fma_f64 v[66:67], v[164:165], s[14:15], v[66:67]
	v_add_f64 v[68:69], v[68:69], v[74:75]
	v_fma_f64 v[74:75], v[160:161], s[14:15], v[149:150]
	v_fma_f64 v[137:138], v[147:148], s[10:11], v[162:163]
	;; [unrolled: 1-line block ×14, first 2 shown]
	v_mul_f64 v[70:71], v[66:67], s[10:11]
	v_mul_f64 v[78:79], v[139:140], s[14:15]
	;; [unrolled: 1-line block ×8, first 2 shown]
	v_fma_f64 v[135:136], v[139:140], s[18:19], v[70:71]
	v_fma_f64 v[143:144], v[66:67], s[18:19], v[78:79]
	;; [unrolled: 1-line block ×4, first 2 shown]
	v_fma_f64 v[141:142], v[64:65], s[10:11], -v[156:157]
	v_fma_f64 v[139:140], v[68:69], s[0:1], -v[147:148]
	;; [unrolled: 1-line block ×4, first 2 shown]
	v_add_f64 v[68:69], v[94:95], -v[135:136]
	v_add_f64 v[70:71], v[127:128], -v[143:144]
	v_add_f64 v[64:65], v[96:97], -v[137:138]
	v_add_f64 v[66:67], v[129:130], -v[145:146]
	v_add_f64 v[76:77], v[98:99], -v[139:140]
	v_add_f64 v[72:73], v[125:126], -v[141:142]
	v_add_f64 v[78:79], v[133:134], -v[147:148]
	v_add_f64 v[74:75], v[131:132], -v[149:150]
	s_and_saveexec_b64 s[0:1], vcc
	s_cbranch_execz .LBB0_5
; %bb.4:
	v_add_f64 v[62:63], v[62:63], v[123:124]
	v_add_f64 v[119:120], v[119:120], v[121:122]
	;; [unrolled: 1-line block ×24, first 2 shown]
	v_add_f64 v[96:97], v[84:85], -v[105:106]
	v_add_f64 v[105:106], v[84:85], v[105:106]
	v_add_f64 v[103:104], v[107:108], v[109:110]
	v_add_f64 v[94:95], v[107:108], -v[109:110]
	v_lshl_add_u32 v84, v151, 4, v155
	ds_write_b128 v84, v[80:83] offset:96
	ds_write_b128 v84, v[90:93] offset:192
	;; [unrolled: 1-line block ×4, first 2 shown]
	ds_write_b128 v152, v[103:106]
	ds_write_b128 v152, v[94:97] offset:480
	ds_write_b128 v84, v[68:71] offset:576
	;; [unrolled: 1-line block ×5, first 2 shown]
.LBB0_5:
	s_or_b64 exec, exec, s[0:1]
	s_waitcnt lgkmcnt(0)
	; wave barrier
	s_waitcnt lgkmcnt(0)
	global_load_dwordx4 v[60:63], v[101:102], off offset:960
	s_add_u32 s0, s8, 0x3c0
	s_addc_u32 s1, s9, 0
	global_load_dwordx4 v[80:83], v153, s[0:1] offset:160
	global_load_dwordx4 v[84:87], v153, s[0:1] offset:320
	;; [unrolled: 1-line block ×5, first 2 shown]
	ds_read_b128 v[101:104], v152
	ds_read_b128 v[105:108], v152 offset:160
	ds_read_b128 v[113:116], v152 offset:640
	;; [unrolled: 1-line block ×3, first 2 shown]
	s_mov_b32 s0, 0xe8584caa
	s_mov_b32 s1, 0xbfebb67a
	;; [unrolled: 1-line block ×4, first 2 shown]
	s_waitcnt vmcnt(5) lgkmcnt(3)
	v_mul_f64 v[109:110], v[103:104], v[62:63]
	v_mul_f64 v[62:63], v[101:102], v[62:63]
	s_waitcnt vmcnt(2) lgkmcnt(1)
	v_mul_f64 v[123:124], v[115:116], v[90:91]
	v_mul_f64 v[90:91], v[113:114], v[90:91]
	;; [unrolled: 3-line block ×3, first 2 shown]
	v_fma_f64 v[109:110], v[101:102], v[60:61], -v[109:110]
	v_fma_f64 v[111:112], v[103:104], v[60:61], v[62:63]
	v_mul_f64 v[102:103], v[107:108], v[82:83]
	v_mul_f64 v[82:83], v[105:106], v[82:83]
	ds_read_b128 v[60:63], v152 offset:320
	v_lshl_add_u32 v101, v151, 4, v155
	ds_write_b128 v152, v[109:112]
	ds_read_b128 v[109:112], v101 offset:480
	s_waitcnt lgkmcnt(2)
	v_mul_f64 v[121:122], v[62:63], v[86:87]
	v_mul_f64 v[86:87], v[60:61], v[86:87]
	v_fma_f64 v[102:103], v[105:106], v[80:81], -v[102:103]
	v_fma_f64 v[104:105], v[107:108], v[80:81], v[82:83]
	s_waitcnt lgkmcnt(0)
	v_mul_f64 v[106:107], v[111:112], v[94:95]
	v_mul_f64 v[94:95], v[109:110], v[94:95]
	v_fma_f64 v[80:81], v[113:114], v[88:89], -v[123:124]
	v_fma_f64 v[82:83], v[115:116], v[88:89], v[90:91]
	v_fma_f64 v[60:61], v[60:61], v[84:85], -v[121:122]
	v_fma_f64 v[62:63], v[62:63], v[84:85], v[86:87]
	;; [unrolled: 2-line block ×4, first 2 shown]
	ds_write_b128 v152, v[102:105] offset:160
	ds_write_b128 v152, v[60:63] offset:320
	;; [unrolled: 1-line block ×5, first 2 shown]
	s_waitcnt lgkmcnt(0)
	; wave barrier
	s_waitcnt lgkmcnt(0)
	ds_read_b128 v[60:63], v152
	ds_read_b128 v[80:83], v101 offset:480
	ds_read_b128 v[84:87], v152 offset:800
	;; [unrolled: 1-line block ×5, first 2 shown]
	s_waitcnt lgkmcnt(0)
	v_add_f64 v[102:103], v[82:83], v[86:87]
	v_add_f64 v[112:113], v[80:81], v[84:85]
	v_add_f64 v[114:115], v[80:81], -v[84:85]
	v_add_f64 v[106:107], v[88:89], v[92:93]
	v_add_f64 v[108:109], v[90:91], -v[94:95]
	v_add_f64 v[110:111], v[62:63], v[90:91]
	v_add_f64 v[90:91], v[90:91], v[94:95]
	;; [unrolled: 1-line block ×3, first 2 shown]
	v_fma_f64 v[102:103], v[102:103], -0.5, v[98:99]
	v_add_f64 v[116:117], v[82:83], -v[86:87]
	v_add_f64 v[82:83], v[98:99], v[82:83]
	v_fma_f64 v[96:97], v[112:113], -0.5, v[96:97]
	v_add_f64 v[104:105], v[60:61], v[88:89]
	v_add_f64 v[88:89], v[88:89], -v[92:93]
	v_fma_f64 v[60:61], v[106:107], -0.5, v[60:61]
	v_fma_f64 v[62:63], v[90:91], -0.5, v[62:63]
	v_fma_f64 v[98:99], v[114:115], s[2:3], v[102:103]
	v_fma_f64 v[102:103], v[114:115], s[0:1], v[102:103]
	v_add_f64 v[80:81], v[80:81], v[84:85]
	v_add_f64 v[82:83], v[82:83], v[86:87]
	v_fma_f64 v[84:85], v[116:117], s[0:1], v[96:97]
	v_fma_f64 v[86:87], v[116:117], s[2:3], v[96:97]
	v_add_f64 v[92:93], v[104:105], v[92:93]
	v_add_f64 v[94:95], v[110:111], v[94:95]
	v_mul_f64 v[90:91], v[98:99], s[0:1]
	v_mul_f64 v[96:97], v[102:103], s[0:1]
	v_mul_f64 v[98:99], v[98:99], 0.5
	v_mul_f64 v[102:103], v[102:103], -0.5
	v_fma_f64 v[104:105], v[108:109], s[0:1], v[60:61]
	v_fma_f64 v[106:107], v[108:109], s[2:3], v[60:61]
	;; [unrolled: 1-line block ×4, first 2 shown]
	v_fma_f64 v[88:89], v[84:85], 0.5, v[90:91]
	v_fma_f64 v[90:91], v[86:87], -0.5, v[96:97]
	v_fma_f64 v[98:99], v[84:85], s[2:3], v[98:99]
	v_fma_f64 v[102:103], v[86:87], s[2:3], v[102:103]
	v_add_f64 v[60:61], v[92:93], v[80:81]
	v_add_f64 v[62:63], v[94:95], v[82:83]
	v_add_f64 v[84:85], v[92:93], -v[80:81]
	v_add_f64 v[86:87], v[94:95], -v[82:83]
	v_add_f64 v[80:81], v[104:105], v[88:89]
	v_add_f64 v[92:93], v[106:107], v[90:91]
	;; [unrolled: 1-line block ×4, first 2 shown]
	v_add_f64 v[88:89], v[104:105], -v[88:89]
	v_add_f64 v[96:97], v[106:107], -v[90:91]
	v_add_f64 v[90:91], v[108:109], -v[98:99]
	v_add_f64 v[98:99], v[110:111], -v[102:103]
	; wave barrier
	ds_write_b128 v154, v[60:63]
	ds_write_b128 v154, v[84:87] offset:48
	ds_write_b128 v154, v[80:83] offset:16
	;; [unrolled: 1-line block ×5, first 2 shown]
	s_waitcnt lgkmcnt(0)
	; wave barrier
	s_waitcnt lgkmcnt(0)
	s_and_saveexec_b64 s[0:1], vcc
	s_cbranch_execz .LBB0_7
; %bb.6:
	ds_read_b128 v[60:63], v152
	ds_read_b128 v[80:83], v152 offset:96
	ds_read_b128 v[92:95], v152 offset:192
	;; [unrolled: 1-line block ×9, first 2 shown]
.LBB0_7:
	s_or_b64 exec, exec, s[0:1]
	s_and_saveexec_b64 s[0:1], vcc
	s_cbranch_execz .LBB0_9
; %bb.8:
	s_waitcnt lgkmcnt(5)
	v_mul_f64 v[102:103], v[34:35], v[88:89]
	s_waitcnt lgkmcnt(4)
	v_mul_f64 v[104:105], v[50:51], v[68:69]
	v_mul_f64 v[106:107], v[46:47], v[92:93]
	s_waitcnt lgkmcnt(2)
	v_mul_f64 v[108:109], v[58:59], v[76:77]
	v_mul_f64 v[46:47], v[46:47], v[94:95]
	;; [unrolled: 1-line block ×5, first 2 shown]
	v_fma_f64 v[102:103], v[32:33], v[90:91], -v[102:103]
	v_fma_f64 v[104:105], v[48:49], v[70:71], -v[104:105]
	;; [unrolled: 1-line block ×3, first 2 shown]
	s_waitcnt lgkmcnt(0)
	v_mul_f64 v[90:91], v[54:55], v[74:75]
	v_fma_f64 v[44:45], v[44:45], v[92:93], v[46:47]
	v_fma_f64 v[46:47], v[56:57], v[76:77], v[58:59]
	v_mul_f64 v[58:59], v[42:43], v[98:99]
	v_mul_f64 v[76:77], v[38:39], v[66:67]
	v_fma_f64 v[32:33], v[32:33], v[88:89], v[34:35]
	v_mul_f64 v[88:89], v[30:31], v[86:87]
	v_mul_f64 v[30:31], v[30:31], v[84:85]
	;; [unrolled: 1-line block ×5, first 2 shown]
	v_fma_f64 v[58:59], v[40:41], v[96:97], v[58:59]
	v_fma_f64 v[76:77], v[36:37], v[64:65], v[76:77]
	v_mul_f64 v[38:39], v[38:39], v[64:65]
	v_fma_f64 v[84:85], v[28:29], v[84:85], v[88:89]
	v_fma_f64 v[64:65], v[52:53], v[72:73], v[90:91]
	v_fma_f64 v[28:29], v[28:29], v[86:87], -v[30:31]
	v_fma_f64 v[52:53], v[52:53], v[74:75], -v[54:55]
	v_mul_f64 v[26:27], v[26:27], v[80:81]
	v_fma_f64 v[72:73], v[24:25], v[80:81], v[92:93]
	v_add_f64 v[88:89], v[58:59], v[76:77]
	v_fma_f64 v[40:41], v[40:41], v[98:99], -v[42:43]
	v_fma_f64 v[36:37], v[36:37], v[66:67], -v[38:39]
	v_fma_f64 v[78:79], v[56:57], v[78:79], -v[108:109]
	v_add_f64 v[90:91], v[58:59], -v[76:77]
	v_add_f64 v[66:67], v[28:29], v[52:53]
	v_fma_f64 v[24:25], v[24:25], v[82:83], -v[26:27]
	s_mov_b32 s2, 0x134454ff
	v_fma_f64 v[42:43], v[88:89], -0.5, v[72:73]
	v_add_f64 v[82:83], v[28:29], -v[40:41]
	v_add_f64 v[86:87], v[52:53], -v[36:37]
	v_add_f64 v[88:89], v[84:85], v[64:65]
	s_mov_b32 s3, 0xbfee6f0e
	s_mov_b32 s15, 0x3fee6f0e
	v_fma_f64 v[66:67], v[66:67], -0.5, v[24:25]
	s_mov_b32 s14, s2
	v_fma_f64 v[48:49], v[48:49], v[68:69], v[50:51]
	v_add_f64 v[74:75], v[84:85], -v[64:65]
	v_add_f64 v[80:81], v[40:41], -v[36:37]
	v_add_f64 v[96:97], v[70:71], v[78:79]
	v_add_f64 v[82:83], v[82:83], v[86:87]
	v_fma_f64 v[86:87], v[88:89], -0.5, v[72:73]
	v_add_f64 v[88:89], v[40:41], -v[28:29]
	v_add_f64 v[98:99], v[36:37], -v[52:53]
	v_fma_f64 v[106:107], v[90:91], s[14:15], v[66:67]
	v_fma_f64 v[66:67], v[90:91], s[2:3], v[66:67]
	s_mov_b32 s10, 0x4755a5e
	s_mov_b32 s11, 0xbfe2cf23
	;; [unrolled: 1-line block ×4, first 2 shown]
	v_add_f64 v[56:57], v[102:103], v[104:105]
	v_add_f64 v[94:95], v[32:33], -v[48:49]
	v_add_f64 v[30:31], v[84:85], -v[58:59]
	;; [unrolled: 1-line block ×4, first 2 shown]
	v_add_f64 v[26:27], v[40:41], v[36:37]
	v_fma_f64 v[96:97], v[96:97], -0.5, v[62:63]
	v_add_f64 v[108:109], v[58:59], -v[84:85]
	v_add_f64 v[110:111], v[76:77], -v[64:65]
	v_fma_f64 v[112:113], v[80:81], s[2:3], v[86:87]
	v_add_f64 v[88:89], v[88:89], v[98:99]
	v_fma_f64 v[86:87], v[80:81], s[14:15], v[86:87]
	v_fma_f64 v[66:67], v[74:75], s[16:17], v[66:67]
	s_mov_b32 s8, 0x372fe950
	s_mov_b32 s9, 0x3fd3c6ef
	v_add_f64 v[34:35], v[70:71], -v[102:103]
	v_add_f64 v[50:51], v[78:79], -v[104:105]
	;; [unrolled: 1-line block ×3, first 2 shown]
	v_fma_f64 v[56:57], v[56:57], -0.5, v[62:63]
	v_add_f64 v[38:39], v[30:31], v[38:39]
	v_fma_f64 v[30:31], v[54:55], s[14:15], v[42:43]
	v_fma_f64 v[26:27], v[26:27], -0.5, v[24:25]
	v_fma_f64 v[98:99], v[74:75], s[10:11], v[106:107]
	v_add_f64 v[106:107], v[102:103], -v[70:71]
	v_add_f64 v[114:115], v[104:105], -v[78:79]
	v_fma_f64 v[116:117], v[94:95], s[14:15], v[96:97]
	v_add_f64 v[108:109], v[108:109], v[110:111]
	v_fma_f64 v[110:111], v[54:55], s[16:17], v[112:113]
	v_fma_f64 v[96:97], v[94:95], s[2:3], v[96:97]
	;; [unrolled: 1-line block ×5, first 2 shown]
	v_add_f64 v[62:63], v[62:63], v[70:71]
	v_add_f64 v[24:25], v[24:25], v[28:29]
	;; [unrolled: 1-line block ×3, first 2 shown]
	v_fma_f64 v[50:51], v[68:69], s[2:3], v[56:57]
	v_fma_f64 v[30:31], v[80:81], s[16:17], v[30:31]
	v_add_f64 v[106:107], v[106:107], v[114:115]
	v_fma_f64 v[114:115], v[68:69], s[10:11], v[116:117]
	v_fma_f64 v[96:97], v[68:69], s[16:17], v[96:97]
	;; [unrolled: 1-line block ×5, first 2 shown]
	v_mul_f64 v[68:69], v[66:67], s[8:9]
	v_add_f64 v[62:63], v[62:63], v[102:103]
	v_add_f64 v[24:25], v[24:25], v[40:41]
	v_fma_f64 v[92:93], v[74:75], s[2:3], v[26:27]
	v_fma_f64 v[112:113], v[38:39], s[8:9], v[30:31]
	v_fma_f64 v[74:75], v[74:75], s[14:15], v[26:27]
	v_fma_f64 v[28:29], v[94:95], s[16:17], v[28:29]
	v_fma_f64 v[40:41], v[38:39], s[8:9], v[42:43]
	v_add_f64 v[38:39], v[32:33], v[48:49]
	v_add_f64 v[62:63], v[62:63], v[104:105]
	;; [unrolled: 1-line block ×3, first 2 shown]
	v_fma_f64 v[36:37], v[54:55], s[14:15], v[68:69]
	v_add_f64 v[68:69], v[44:45], v[46:47]
	v_fma_f64 v[92:93], v[90:91], s[10:11], v[92:93]
	v_fma_f64 v[74:75], v[90:91], s[16:17], v[74:75]
	;; [unrolled: 1-line block ×3, first 2 shown]
	v_fma_f64 v[28:29], v[38:39], -0.5, v[60:61]
	v_add_f64 v[70:71], v[70:71], -v[78:79]
	v_add_f64 v[62:63], v[62:63], v[78:79]
	v_add_f64 v[78:79], v[44:45], -v[32:33]
	v_fma_f64 v[68:69], v[68:69], -0.5, v[60:61]
	v_add_f64 v[90:91], v[32:33], -v[44:45]
	v_add_f64 v[44:45], v[60:61], v[44:45]
	v_add_f64 v[60:61], v[72:73], v[84:85]
	;; [unrolled: 1-line block ×3, first 2 shown]
	v_add_f64 v[24:25], v[102:103], -v[104:105]
	v_fma_f64 v[98:99], v[88:89], s[8:9], v[98:99]
	v_fma_f64 v[74:75], v[82:83], s[8:9], v[74:75]
	v_add_f64 v[86:87], v[46:47], -v[48:49]
	v_fma_f64 v[88:89], v[70:71], s[14:15], v[28:29]
	v_add_f64 v[32:33], v[44:45], v[32:33]
	v_add_f64 v[44:45], v[60:61], v[58:59]
	v_fma_f64 v[28:29], v[70:71], s[2:3], v[28:29]
	v_fma_f64 v[50:51], v[94:95], s[10:11], v[50:51]
	v_fma_f64 v[56:57], v[106:107], s[8:9], v[96:97]
	v_add_f64 v[94:95], v[48:49], -v[46:47]
	v_fma_f64 v[96:97], v[24:25], s[2:3], v[68:69]
	v_fma_f64 v[68:69], v[24:25], s[14:15], v[68:69]
	;; [unrolled: 1-line block ×3, first 2 shown]
	s_mov_b32 s18, 0x9b97f4a8
	s_mov_b32 s19, 0xbfe9e377
	;; [unrolled: 1-line block ×4, first 2 shown]
	v_add_f64 v[32:33], v[32:33], v[48:49]
	v_add_f64 v[44:45], v[44:45], v[76:77]
	v_mul_f64 v[42:43], v[74:75], s[22:23]
	v_add_f64 v[78:79], v[78:79], v[86:87]
	v_fma_f64 v[60:61], v[24:25], s[10:11], v[28:29]
	v_mul_f64 v[48:49], v[74:75], s[10:11]
	s_mov_b32 s21, 0xbfd3c6ef
	s_mov_b32 s20, s8
	v_add_f64 v[84:85], v[90:91], v[94:95]
	v_fma_f64 v[58:59], v[70:71], s[10:11], v[68:69]
	v_mul_f64 v[66:67], v[66:67], s[2:3]
	v_mul_f64 v[30:31], v[92:93], s[18:19]
	v_fma_f64 v[110:111], v[108:109], s[8:9], v[110:111]
	v_mul_f64 v[116:117], v[98:99], s[20:21]
	v_fma_f64 v[86:87], v[24:25], s[16:17], v[88:89]
	v_fma_f64 v[88:89], v[70:71], s[16:17], v[96:97]
	v_mul_f64 v[90:91], v[98:99], s[2:3]
	v_mul_f64 v[72:73], v[92:93], s[10:11]
	v_add_f64 v[32:33], v[32:33], v[46:47]
	v_add_f64 v[64:65], v[44:45], v[64:65]
	v_fma_f64 v[82:83], v[40:41], s[16:17], v[42:43]
	v_fma_f64 v[70:71], v[78:79], s[8:9], v[60:61]
	;; [unrolled: 1-line block ×13, first 2 shown]
	v_add_f64 v[42:43], v[62:63], -v[52:53]
	v_add_f64 v[62:63], v[62:63], v[52:53]
	v_add_f64 v[60:61], v[32:33], v[64:65]
	v_add_f64 v[34:35], v[56:57], -v[36:37]
	v_add_f64 v[54:55], v[56:57], v[36:37]
	v_add_f64 v[58:59], v[80:81], v[82:83]
	;; [unrolled: 1-line block ×4, first 2 shown]
	v_add_f64 v[26:27], v[50:51], -v[118:119]
	v_add_f64 v[46:47], v[50:51], v[118:119]
	v_add_f64 v[50:51], v[114:115], v[116:117]
	;; [unrolled: 1-line block ×4, first 2 shown]
	v_add_f64 v[40:41], v[32:33], -v[64:65]
	v_add_f64 v[38:39], v[80:81], -v[82:83]
	;; [unrolled: 1-line block ×7, first 2 shown]
	ds_write_b128 v152, v[60:63]
	ds_write_b128 v101, v[56:59] offset:96
	ds_write_b128 v101, v[52:55] offset:192
	ds_write_b128 v101, v[48:51] offset:288
	ds_write_b128 v101, v[44:47] offset:384
	ds_write_b128 v101, v[40:43] offset:480
	ds_write_b128 v101, v[36:39] offset:576
	ds_write_b128 v101, v[32:35] offset:672
	ds_write_b128 v101, v[28:31] offset:768
	ds_write_b128 v101, v[24:27] offset:864
.LBB0_9:
	s_or_b64 exec, exec, s[0:1]
	s_waitcnt lgkmcnt(0)
	; wave barrier
	s_waitcnt lgkmcnt(0)
	ds_read_b128 v[24:27], v152
	ds_read_b128 v[28:31], v152 offset:160
	v_mad_u64_u32 v[34:35], s[0:1], s6, v100, 0
	v_mad_u64_u32 v[36:37], s[2:3], s4, v151, 0
	s_waitcnt lgkmcnt(1)
	v_mul_f64 v[32:33], v[22:23], v[26:27]
	v_mul_f64 v[22:23], v[22:23], v[24:25]
	s_mov_b32 s0, 0x11111111
	s_mov_b32 s1, 0x3f911111
	v_fma_f64 v[24:25], v[20:21], v[24:25], v[32:33]
	v_fma_f64 v[22:23], v[20:21], v[26:27], -v[22:23]
	v_mad_u64_u32 v[20:21], s[2:3], s7, v100, v[35:36]
	v_mov_b32_e32 v21, v37
	v_mov_b32_e32 v32, s13
	;; [unrolled: 1-line block ×3, first 2 shown]
	v_mad_u64_u32 v[26:27], s[2:3], s5, v151, v[21:22]
	v_mul_f64 v[20:21], v[24:25], s[0:1]
	v_mul_f64 v[22:23], v[22:23], s[0:1]
	v_mov_b32_e32 v37, v26
	s_waitcnt lgkmcnt(0)
	v_mul_f64 v[26:27], v[18:19], v[30:31]
	v_mul_f64 v[18:19], v[18:19], v[28:29]
	v_lshlrev_b64 v[24:25], 4, v[34:35]
	s_mul_i32 s2, s5, 0xa0
	v_add_co_u32_e32 v33, vcc, s12, v24
	v_addc_co_u32_e32 v34, vcc, v32, v25, vcc
	v_fma_f64 v[26:27], v[16:17], v[28:29], v[26:27]
	v_fma_f64 v[28:29], v[16:17], v[30:31], -v[18:19]
	ds_read_b128 v[16:19], v152 offset:320
	v_lshlrev_b64 v[24:25], 4, v[36:37]
	s_mul_hi_u32 s3, s4, 0xa0
	v_add_co_u32_e32 v32, vcc, v33, v24
	v_addc_co_u32_e32 v33, vcc, v34, v25, vcc
	global_store_dwordx4 v[32:33], v[20:23], off
	s_add_i32 s2, s3, s2
	v_mul_f64 v[22:23], v[28:29], s[0:1]
	ds_read_b128 v[28:31], v101 offset:480
	s_waitcnt lgkmcnt(1)
	v_mul_f64 v[34:35], v[6:7], v[18:19]
	v_mul_f64 v[6:7], v[6:7], v[16:17]
	;; [unrolled: 1-line block ×3, first 2 shown]
	ds_read_b128 v[24:27], v152 offset:640
	s_mul_i32 s3, s4, 0xa0
	v_mov_b32_e32 v36, s2
	v_add_co_u32_e32 v32, vcc, s3, v32
	v_fma_f64 v[16:17], v[4:5], v[16:17], v[34:35]
	v_fma_f64 v[18:19], v[4:5], v[18:19], -v[6:7]
	ds_read_b128 v[4:7], v152 offset:800
	s_waitcnt lgkmcnt(2)
	v_mul_f64 v[34:35], v[2:3], v[30:31]
	v_mul_f64 v[2:3], v[2:3], v[28:29]
	v_addc_co_u32_e32 v33, vcc, v33, v36, vcc
	global_store_dwordx4 v[32:33], v[20:23], off
	v_mul_f64 v[16:17], v[16:17], s[0:1]
	v_mul_f64 v[18:19], v[18:19], s[0:1]
	v_mov_b32_e32 v23, s2
	v_fma_f64 v[20:21], v[0:1], v[28:29], v[34:35]
	v_fma_f64 v[2:3], v[0:1], v[30:31], -v[2:3]
	s_waitcnt lgkmcnt(1)
	v_mul_f64 v[28:29], v[10:11], v[26:27]
	v_mul_f64 v[10:11], v[10:11], v[24:25]
	s_waitcnt lgkmcnt(0)
	v_mul_f64 v[30:31], v[14:15], v[6:7]
	v_mul_f64 v[14:15], v[14:15], v[4:5]
	v_add_co_u32_e32 v22, vcc, s3, v32
	v_addc_co_u32_e32 v23, vcc, v33, v23, vcc
	global_store_dwordx4 v[22:23], v[16:19], off
	v_mul_f64 v[0:1], v[20:21], s[0:1]
	v_mul_f64 v[2:3], v[2:3], s[0:1]
	v_fma_f64 v[16:17], v[8:9], v[24:25], v[28:29]
	v_fma_f64 v[8:9], v[8:9], v[26:27], -v[10:11]
	v_fma_f64 v[4:5], v[12:13], v[4:5], v[30:31]
	v_fma_f64 v[6:7], v[12:13], v[6:7], -v[14:15]
	v_mov_b32_e32 v18, s2
	v_add_co_u32_e32 v10, vcc, s3, v22
	v_addc_co_u32_e32 v11, vcc, v23, v18, vcc
	global_store_dwordx4 v[10:11], v[0:3], off
	v_mul_f64 v[4:5], v[4:5], s[0:1]
	v_mul_f64 v[0:1], v[16:17], s[0:1]
	;; [unrolled: 1-line block ×4, first 2 shown]
	v_mov_b32_e32 v9, s2
	v_add_co_u32_e32 v8, vcc, s3, v10
	v_addc_co_u32_e32 v9, vcc, v11, v9, vcc
	global_store_dwordx4 v[8:9], v[0:3], off
	s_nop 0
	v_mov_b32_e32 v1, s2
	v_add_co_u32_e32 v0, vcc, s3, v8
	v_addc_co_u32_e32 v1, vcc, v9, v1, vcc
	global_store_dwordx4 v[0:1], v[4:7], off
.LBB0_10:
	s_endpgm
	.section	.rodata,"a",@progbits
	.p2align	6, 0x0
	.amdhsa_kernel bluestein_single_fwd_len60_dim1_dp_op_CI_CI
		.amdhsa_group_segment_fixed_size 5760
		.amdhsa_private_segment_fixed_size 0
		.amdhsa_kernarg_size 104
		.amdhsa_user_sgpr_count 6
		.amdhsa_user_sgpr_private_segment_buffer 1
		.amdhsa_user_sgpr_dispatch_ptr 0
		.amdhsa_user_sgpr_queue_ptr 0
		.amdhsa_user_sgpr_kernarg_segment_ptr 1
		.amdhsa_user_sgpr_dispatch_id 0
		.amdhsa_user_sgpr_flat_scratch_init 0
		.amdhsa_user_sgpr_private_segment_size 0
		.amdhsa_uses_dynamic_stack 0
		.amdhsa_system_sgpr_private_segment_wavefront_offset 0
		.amdhsa_system_sgpr_workgroup_id_x 1
		.amdhsa_system_sgpr_workgroup_id_y 0
		.amdhsa_system_sgpr_workgroup_id_z 0
		.amdhsa_system_sgpr_workgroup_info 0
		.amdhsa_system_vgpr_workitem_id 0
		.amdhsa_next_free_vgpr 168
		.amdhsa_next_free_sgpr 24
		.amdhsa_reserve_vcc 1
		.amdhsa_reserve_flat_scratch 0
		.amdhsa_float_round_mode_32 0
		.amdhsa_float_round_mode_16_64 0
		.amdhsa_float_denorm_mode_32 3
		.amdhsa_float_denorm_mode_16_64 3
		.amdhsa_dx10_clamp 1
		.amdhsa_ieee_mode 1
		.amdhsa_fp16_overflow 0
		.amdhsa_exception_fp_ieee_invalid_op 0
		.amdhsa_exception_fp_denorm_src 0
		.amdhsa_exception_fp_ieee_div_zero 0
		.amdhsa_exception_fp_ieee_overflow 0
		.amdhsa_exception_fp_ieee_underflow 0
		.amdhsa_exception_fp_ieee_inexact 0
		.amdhsa_exception_int_div_zero 0
	.end_amdhsa_kernel
	.text
.Lfunc_end0:
	.size	bluestein_single_fwd_len60_dim1_dp_op_CI_CI, .Lfunc_end0-bluestein_single_fwd_len60_dim1_dp_op_CI_CI
                                        ; -- End function
	.section	.AMDGPU.csdata,"",@progbits
; Kernel info:
; codeLenInByte = 6452
; NumSgprs: 28
; NumVgprs: 168
; ScratchSize: 0
; MemoryBound: 0
; FloatMode: 240
; IeeeMode: 1
; LDSByteSize: 5760 bytes/workgroup (compile time only)
; SGPRBlocks: 3
; VGPRBlocks: 41
; NumSGPRsForWavesPerEU: 28
; NumVGPRsForWavesPerEU: 168
; Occupancy: 1
; WaveLimiterHint : 1
; COMPUTE_PGM_RSRC2:SCRATCH_EN: 0
; COMPUTE_PGM_RSRC2:USER_SGPR: 6
; COMPUTE_PGM_RSRC2:TRAP_HANDLER: 0
; COMPUTE_PGM_RSRC2:TGID_X_EN: 1
; COMPUTE_PGM_RSRC2:TGID_Y_EN: 0
; COMPUTE_PGM_RSRC2:TGID_Z_EN: 0
; COMPUTE_PGM_RSRC2:TIDIG_COMP_CNT: 0
	.type	__hip_cuid_d9adfed2efe1a50a,@object ; @__hip_cuid_d9adfed2efe1a50a
	.section	.bss,"aw",@nobits
	.globl	__hip_cuid_d9adfed2efe1a50a
__hip_cuid_d9adfed2efe1a50a:
	.byte	0                               ; 0x0
	.size	__hip_cuid_d9adfed2efe1a50a, 1

	.ident	"AMD clang version 19.0.0git (https://github.com/RadeonOpenCompute/llvm-project roc-6.4.0 25133 c7fe45cf4b819c5991fe208aaa96edf142730f1d)"
	.section	".note.GNU-stack","",@progbits
	.addrsig
	.addrsig_sym __hip_cuid_d9adfed2efe1a50a
	.amdgpu_metadata
---
amdhsa.kernels:
  - .args:
      - .actual_access:  read_only
        .address_space:  global
        .offset:         0
        .size:           8
        .value_kind:     global_buffer
      - .actual_access:  read_only
        .address_space:  global
        .offset:         8
        .size:           8
        .value_kind:     global_buffer
      - .actual_access:  read_only
        .address_space:  global
        .offset:         16
        .size:           8
        .value_kind:     global_buffer
      - .actual_access:  read_only
        .address_space:  global
        .offset:         24
        .size:           8
        .value_kind:     global_buffer
      - .actual_access:  read_only
        .address_space:  global
        .offset:         32
        .size:           8
        .value_kind:     global_buffer
      - .offset:         40
        .size:           8
        .value_kind:     by_value
      - .address_space:  global
        .offset:         48
        .size:           8
        .value_kind:     global_buffer
      - .address_space:  global
        .offset:         56
        .size:           8
        .value_kind:     global_buffer
      - .address_space:  global
        .offset:         64
        .size:           8
        .value_kind:     global_buffer
      - .address_space:  global
        .offset:         72
        .size:           8
        .value_kind:     global_buffer
      - .offset:         80
        .size:           4
        .value_kind:     by_value
      - .address_space:  global
        .offset:         88
        .size:           8
        .value_kind:     global_buffer
      - .address_space:  global
        .offset:         96
        .size:           8
        .value_kind:     global_buffer
    .group_segment_fixed_size: 5760
    .kernarg_segment_align: 8
    .kernarg_segment_size: 104
    .language:       OpenCL C
    .language_version:
      - 2
      - 0
    .max_flat_workgroup_size: 60
    .name:           bluestein_single_fwd_len60_dim1_dp_op_CI_CI
    .private_segment_fixed_size: 0
    .sgpr_count:     28
    .sgpr_spill_count: 0
    .symbol:         bluestein_single_fwd_len60_dim1_dp_op_CI_CI.kd
    .uniform_work_group_size: 1
    .uses_dynamic_stack: false
    .vgpr_count:     168
    .vgpr_spill_count: 0
    .wavefront_size: 64
amdhsa.target:   amdgcn-amd-amdhsa--gfx906
amdhsa.version:
  - 1
  - 2
...

	.end_amdgpu_metadata
